;; amdgpu-corpus repo=ROCm/rocFFT kind=compiled arch=gfx1201 opt=O3
	.text
	.amdgcn_target "amdgcn-amd-amdhsa--gfx1201"
	.amdhsa_code_object_version 6
	.protected	fft_rtc_back_len528_factors_4_4_3_11_wgs_48_tpt_48_halfLds_sp_ip_CI_sbrr_dirReg ; -- Begin function fft_rtc_back_len528_factors_4_4_3_11_wgs_48_tpt_48_halfLds_sp_ip_CI_sbrr_dirReg
	.globl	fft_rtc_back_len528_factors_4_4_3_11_wgs_48_tpt_48_halfLds_sp_ip_CI_sbrr_dirReg
	.p2align	8
	.type	fft_rtc_back_len528_factors_4_4_3_11_wgs_48_tpt_48_halfLds_sp_ip_CI_sbrr_dirReg,@function
fft_rtc_back_len528_factors_4_4_3_11_wgs_48_tpt_48_halfLds_sp_ip_CI_sbrr_dirReg: ; @fft_rtc_back_len528_factors_4_4_3_11_wgs_48_tpt_48_halfLds_sp_ip_CI_sbrr_dirReg
; %bb.0:
	s_clause 0x2
	s_load_b64 s[12:13], s[0:1], 0x18
	s_load_b128 s[4:7], s[0:1], 0x0
	s_load_b64 s[10:11], s[0:1], 0x50
	v_mul_u32_u24_e32 v1, 0x556, v0
	v_mov_b32_e32 v3, 0
	s_delay_alu instid0(VALU_DEP_2) | instskip(NEXT) | instid1(VALU_DEP_1)
	v_lshrrev_b32_e32 v1, 16, v1
	v_add_nc_u32_e32 v5, ttmp9, v1
	v_mov_b32_e32 v1, 0
	v_mov_b32_e32 v2, 0
	;; [unrolled: 1-line block ×3, first 2 shown]
	s_wait_kmcnt 0x0
	s_load_b64 s[8:9], s[12:13], 0x0
	v_cmp_lt_u64_e64 s2, s[6:7], 2
	s_delay_alu instid0(VALU_DEP_1)
	s_and_b32 vcc_lo, exec_lo, s2
	s_cbranch_vccnz .LBB0_8
; %bb.1:
	s_load_b64 s[2:3], s[0:1], 0x10
	v_mov_b32_e32 v1, 0
	v_mov_b32_e32 v2, 0
	s_add_nc_u64 s[14:15], s[12:13], 8
	s_mov_b64 s[16:17], 1
	s_wait_kmcnt 0x0
	s_add_nc_u64 s[18:19], s[2:3], 8
	s_mov_b32 s3, 0
.LBB0_2:                                ; =>This Inner Loop Header: Depth=1
	s_load_b64 s[20:21], s[18:19], 0x0
                                        ; implicit-def: $vgpr7_vgpr8
	s_mov_b32 s2, exec_lo
	s_wait_kmcnt 0x0
	v_or_b32_e32 v4, s21, v6
	s_delay_alu instid0(VALU_DEP_1)
	v_cmpx_ne_u64_e32 0, v[3:4]
	s_wait_alu 0xfffe
	s_xor_b32 s22, exec_lo, s2
	s_cbranch_execz .LBB0_4
; %bb.3:                                ;   in Loop: Header=BB0_2 Depth=1
	s_cvt_f32_u32 s2, s20
	s_cvt_f32_u32 s23, s21
	s_sub_nc_u64 s[26:27], 0, s[20:21]
	s_wait_alu 0xfffe
	s_delay_alu instid0(SALU_CYCLE_1) | instskip(SKIP_1) | instid1(SALU_CYCLE_2)
	s_fmamk_f32 s2, s23, 0x4f800000, s2
	s_wait_alu 0xfffe
	v_s_rcp_f32 s2, s2
	s_delay_alu instid0(TRANS32_DEP_1) | instskip(SKIP_1) | instid1(SALU_CYCLE_2)
	s_mul_f32 s2, s2, 0x5f7ffffc
	s_wait_alu 0xfffe
	s_mul_f32 s23, s2, 0x2f800000
	s_wait_alu 0xfffe
	s_delay_alu instid0(SALU_CYCLE_2) | instskip(SKIP_1) | instid1(SALU_CYCLE_2)
	s_trunc_f32 s23, s23
	s_wait_alu 0xfffe
	s_fmamk_f32 s2, s23, 0xcf800000, s2
	s_cvt_u32_f32 s25, s23
	s_wait_alu 0xfffe
	s_delay_alu instid0(SALU_CYCLE_1) | instskip(SKIP_1) | instid1(SALU_CYCLE_2)
	s_cvt_u32_f32 s24, s2
	s_wait_alu 0xfffe
	s_mul_u64 s[28:29], s[26:27], s[24:25]
	s_wait_alu 0xfffe
	s_mul_hi_u32 s31, s24, s29
	s_mul_i32 s30, s24, s29
	s_mul_hi_u32 s2, s24, s28
	s_mul_i32 s33, s25, s28
	s_wait_alu 0xfffe
	s_add_nc_u64 s[30:31], s[2:3], s[30:31]
	s_mul_hi_u32 s23, s25, s28
	s_mul_hi_u32 s34, s25, s29
	s_add_co_u32 s2, s30, s33
	s_wait_alu 0xfffe
	s_add_co_ci_u32 s2, s31, s23
	s_mul_i32 s28, s25, s29
	s_add_co_ci_u32 s29, s34, 0
	s_wait_alu 0xfffe
	s_add_nc_u64 s[28:29], s[2:3], s[28:29]
	s_wait_alu 0xfffe
	v_add_co_u32 v4, s2, s24, s28
	s_delay_alu instid0(VALU_DEP_1) | instskip(SKIP_1) | instid1(VALU_DEP_1)
	s_cmp_lg_u32 s2, 0
	s_add_co_ci_u32 s25, s25, s29
	v_readfirstlane_b32 s24, v4
	s_wait_alu 0xfffe
	s_delay_alu instid0(VALU_DEP_1)
	s_mul_u64 s[26:27], s[26:27], s[24:25]
	s_wait_alu 0xfffe
	s_mul_hi_u32 s29, s24, s27
	s_mul_i32 s28, s24, s27
	s_mul_hi_u32 s2, s24, s26
	s_mul_i32 s30, s25, s26
	s_wait_alu 0xfffe
	s_add_nc_u64 s[28:29], s[2:3], s[28:29]
	s_mul_hi_u32 s23, s25, s26
	s_mul_hi_u32 s24, s25, s27
	s_wait_alu 0xfffe
	s_add_co_u32 s2, s28, s30
	s_add_co_ci_u32 s2, s29, s23
	s_mul_i32 s26, s25, s27
	s_add_co_ci_u32 s27, s24, 0
	s_wait_alu 0xfffe
	s_add_nc_u64 s[26:27], s[2:3], s[26:27]
	s_wait_alu 0xfffe
	v_add_co_u32 v4, s2, v4, s26
	s_delay_alu instid0(VALU_DEP_1) | instskip(SKIP_1) | instid1(VALU_DEP_1)
	s_cmp_lg_u32 s2, 0
	s_add_co_ci_u32 s2, s25, s27
	v_mul_hi_u32 v13, v5, v4
	s_wait_alu 0xfffe
	v_mad_co_u64_u32 v[7:8], null, v5, s2, 0
	v_mad_co_u64_u32 v[9:10], null, v6, v4, 0
	;; [unrolled: 1-line block ×3, first 2 shown]
	s_delay_alu instid0(VALU_DEP_3) | instskip(SKIP_1) | instid1(VALU_DEP_4)
	v_add_co_u32 v4, vcc_lo, v13, v7
	s_wait_alu 0xfffd
	v_add_co_ci_u32_e32 v7, vcc_lo, 0, v8, vcc_lo
	s_delay_alu instid0(VALU_DEP_2) | instskip(SKIP_1) | instid1(VALU_DEP_2)
	v_add_co_u32 v4, vcc_lo, v4, v9
	s_wait_alu 0xfffd
	v_add_co_ci_u32_e32 v4, vcc_lo, v7, v10, vcc_lo
	s_wait_alu 0xfffd
	v_add_co_ci_u32_e32 v7, vcc_lo, 0, v12, vcc_lo
	s_delay_alu instid0(VALU_DEP_2) | instskip(SKIP_1) | instid1(VALU_DEP_2)
	v_add_co_u32 v4, vcc_lo, v4, v11
	s_wait_alu 0xfffd
	v_add_co_ci_u32_e32 v9, vcc_lo, 0, v7, vcc_lo
	s_delay_alu instid0(VALU_DEP_2) | instskip(SKIP_1) | instid1(VALU_DEP_3)
	v_mul_lo_u32 v10, s21, v4
	v_mad_co_u64_u32 v[7:8], null, s20, v4, 0
	v_mul_lo_u32 v11, s20, v9
	s_delay_alu instid0(VALU_DEP_2) | instskip(NEXT) | instid1(VALU_DEP_2)
	v_sub_co_u32 v7, vcc_lo, v5, v7
	v_add3_u32 v8, v8, v11, v10
	s_delay_alu instid0(VALU_DEP_1) | instskip(SKIP_1) | instid1(VALU_DEP_1)
	v_sub_nc_u32_e32 v10, v6, v8
	s_wait_alu 0xfffd
	v_subrev_co_ci_u32_e64 v10, s2, s21, v10, vcc_lo
	v_add_co_u32 v11, s2, v4, 2
	s_wait_alu 0xf1ff
	v_add_co_ci_u32_e64 v12, s2, 0, v9, s2
	v_sub_co_u32 v13, s2, v7, s20
	v_sub_co_ci_u32_e32 v8, vcc_lo, v6, v8, vcc_lo
	s_wait_alu 0xf1ff
	v_subrev_co_ci_u32_e64 v10, s2, 0, v10, s2
	s_delay_alu instid0(VALU_DEP_3) | instskip(NEXT) | instid1(VALU_DEP_3)
	v_cmp_le_u32_e32 vcc_lo, s20, v13
	v_cmp_eq_u32_e64 s2, s21, v8
	s_wait_alu 0xfffd
	v_cndmask_b32_e64 v13, 0, -1, vcc_lo
	v_cmp_le_u32_e32 vcc_lo, s21, v10
	s_wait_alu 0xfffd
	v_cndmask_b32_e64 v14, 0, -1, vcc_lo
	v_cmp_le_u32_e32 vcc_lo, s20, v7
	;; [unrolled: 3-line block ×3, first 2 shown]
	s_wait_alu 0xfffd
	v_cndmask_b32_e64 v15, 0, -1, vcc_lo
	v_cmp_eq_u32_e32 vcc_lo, s21, v10
	s_wait_alu 0xf1ff
	s_delay_alu instid0(VALU_DEP_2)
	v_cndmask_b32_e64 v7, v15, v7, s2
	s_wait_alu 0xfffd
	v_cndmask_b32_e32 v10, v14, v13, vcc_lo
	v_add_co_u32 v13, vcc_lo, v4, 1
	s_wait_alu 0xfffd
	v_add_co_ci_u32_e32 v14, vcc_lo, 0, v9, vcc_lo
	s_delay_alu instid0(VALU_DEP_3) | instskip(SKIP_2) | instid1(VALU_DEP_3)
	v_cmp_ne_u32_e32 vcc_lo, 0, v10
	s_wait_alu 0xfffd
	v_cndmask_b32_e32 v10, v13, v11, vcc_lo
	v_cndmask_b32_e32 v8, v14, v12, vcc_lo
	v_cmp_ne_u32_e32 vcc_lo, 0, v7
	s_wait_alu 0xfffd
	s_delay_alu instid0(VALU_DEP_2)
	v_dual_cndmask_b32 v7, v4, v10 :: v_dual_cndmask_b32 v8, v9, v8
.LBB0_4:                                ;   in Loop: Header=BB0_2 Depth=1
	s_wait_alu 0xfffe
	s_and_not1_saveexec_b32 s2, s22
	s_cbranch_execz .LBB0_6
; %bb.5:                                ;   in Loop: Header=BB0_2 Depth=1
	v_cvt_f32_u32_e32 v4, s20
	s_sub_co_i32 s22, 0, s20
	s_delay_alu instid0(VALU_DEP_1) | instskip(NEXT) | instid1(TRANS32_DEP_1)
	v_rcp_iflag_f32_e32 v4, v4
	v_mul_f32_e32 v4, 0x4f7ffffe, v4
	s_delay_alu instid0(VALU_DEP_1) | instskip(SKIP_1) | instid1(VALU_DEP_1)
	v_cvt_u32_f32_e32 v4, v4
	s_wait_alu 0xfffe
	v_mul_lo_u32 v7, s22, v4
	s_delay_alu instid0(VALU_DEP_1) | instskip(NEXT) | instid1(VALU_DEP_1)
	v_mul_hi_u32 v7, v4, v7
	v_add_nc_u32_e32 v4, v4, v7
	s_delay_alu instid0(VALU_DEP_1) | instskip(NEXT) | instid1(VALU_DEP_1)
	v_mul_hi_u32 v4, v5, v4
	v_mul_lo_u32 v7, v4, s20
	v_add_nc_u32_e32 v8, 1, v4
	s_delay_alu instid0(VALU_DEP_2) | instskip(NEXT) | instid1(VALU_DEP_1)
	v_sub_nc_u32_e32 v7, v5, v7
	v_subrev_nc_u32_e32 v9, s20, v7
	v_cmp_le_u32_e32 vcc_lo, s20, v7
	s_wait_alu 0xfffd
	s_delay_alu instid0(VALU_DEP_2) | instskip(NEXT) | instid1(VALU_DEP_1)
	v_dual_cndmask_b32 v7, v7, v9 :: v_dual_cndmask_b32 v4, v4, v8
	v_cmp_le_u32_e32 vcc_lo, s20, v7
	s_delay_alu instid0(VALU_DEP_2) | instskip(SKIP_1) | instid1(VALU_DEP_1)
	v_add_nc_u32_e32 v8, 1, v4
	s_wait_alu 0xfffd
	v_dual_cndmask_b32 v7, v4, v8 :: v_dual_mov_b32 v8, v3
.LBB0_6:                                ;   in Loop: Header=BB0_2 Depth=1
	s_wait_alu 0xfffe
	s_or_b32 exec_lo, exec_lo, s2
	s_load_b64 s[22:23], s[14:15], 0x0
	s_delay_alu instid0(VALU_DEP_1)
	v_mul_lo_u32 v4, v8, s20
	v_mul_lo_u32 v11, v7, s21
	v_mad_co_u64_u32 v[9:10], null, v7, s20, 0
	s_add_nc_u64 s[16:17], s[16:17], 1
	s_add_nc_u64 s[14:15], s[14:15], 8
	s_wait_alu 0xfffe
	v_cmp_ge_u64_e64 s2, s[16:17], s[6:7]
	s_add_nc_u64 s[18:19], s[18:19], 8
	s_delay_alu instid0(VALU_DEP_2) | instskip(NEXT) | instid1(VALU_DEP_3)
	v_add3_u32 v4, v10, v11, v4
	v_sub_co_u32 v5, vcc_lo, v5, v9
	s_wait_alu 0xfffd
	s_delay_alu instid0(VALU_DEP_2) | instskip(SKIP_3) | instid1(VALU_DEP_2)
	v_sub_co_ci_u32_e32 v4, vcc_lo, v6, v4, vcc_lo
	s_and_b32 vcc_lo, exec_lo, s2
	s_wait_kmcnt 0x0
	v_mul_lo_u32 v6, s23, v5
	v_mul_lo_u32 v4, s22, v4
	v_mad_co_u64_u32 v[1:2], null, s22, v5, v[1:2]
	s_delay_alu instid0(VALU_DEP_1)
	v_add3_u32 v2, v6, v2, v4
	s_wait_alu 0xfffe
	s_cbranch_vccnz .LBB0_9
; %bb.7:                                ;   in Loop: Header=BB0_2 Depth=1
	v_dual_mov_b32 v5, v7 :: v_dual_mov_b32 v6, v8
	s_branch .LBB0_2
.LBB0_8:
	v_dual_mov_b32 v8, v6 :: v_dual_mov_b32 v7, v5
.LBB0_9:
	s_lshl_b64 s[2:3], s[6:7], 3
	v_mul_hi_u32 v3, 0x5555556, v0
	s_wait_alu 0xfffe
	s_add_nc_u64 s[2:3], s[12:13], s[2:3]
	s_load_b64 s[2:3], s[2:3], 0x0
	s_load_b64 s[0:1], s[0:1], 0x20
	s_delay_alu instid0(VALU_DEP_1) | instskip(NEXT) | instid1(VALU_DEP_1)
	v_mul_u32_u24_e32 v3, 48, v3
	v_sub_nc_u32_e32 v34, v0, v3
	s_delay_alu instid0(VALU_DEP_1)
	v_add_nc_u32_e32 v29, 48, v34
	s_wait_kmcnt 0x0
	v_mul_lo_u32 v4, s2, v8
	v_mul_lo_u32 v5, s3, v7
	v_mad_co_u64_u32 v[1:2], null, s2, v7, v[1:2]
	v_cmp_gt_u64_e32 vcc_lo, s[0:1], v[7:8]
	v_cmp_le_u64_e64 s0, s[0:1], v[7:8]
                                        ; implicit-def: $sgpr2
                                        ; implicit-def: $sgpr3
	s_delay_alu instid0(VALU_DEP_3) | instskip(NEXT) | instid1(VALU_DEP_2)
	v_add3_u32 v2, v5, v2, v4
	s_and_saveexec_b32 s1, s0
	s_wait_alu 0xfffe
	s_xor_b32 s0, exec_lo, s1
; %bb.10:
	v_add_nc_u32_e32 v29, 48, v34
	s_mov_b32 s3, 0
	s_mov_b32 s2, 0
; %bb.11:
	s_wait_alu 0xfffe
	s_or_saveexec_b32 s1, s0
	v_lshlrev_b64_e32 v[20:21], 3, v[1:2]
	v_dual_mov_b32 v19, s3 :: v_dual_mov_b32 v38, s2
	v_dual_mov_b32 v18, s3 :: v_dual_mov_b32 v23, s3
	v_mov_b32_e32 v22, s3
                                        ; implicit-def: $vgpr1
                                        ; implicit-def: $vgpr12
                                        ; implicit-def: $vgpr14
                                        ; implicit-def: $vgpr5
                                        ; implicit-def: $vgpr3
                                        ; implicit-def: $vgpr10
                                        ; implicit-def: $vgpr16
                                        ; implicit-def: $vgpr26
                                        ; implicit-def: $vgpr28
                                        ; implicit-def: $vgpr7
	s_wait_alu 0xfffe
	s_xor_b32 exec_lo, exec_lo, s1
	s_cbranch_execz .LBB0_15
; %bb.12:
	v_add_nc_u32_e32 v8, 0x84, v34
	v_add_nc_u32_e32 v9, 0x108, v34
	v_mad_co_u64_u32 v[0:1], null, s8, v34, 0
	v_add_nc_u32_e32 v13, 0x18c, v34
	s_delay_alu instid0(VALU_DEP_4) | instskip(NEXT) | instid1(VALU_DEP_4)
	v_mad_co_u64_u32 v[2:3], null, s8, v8, 0
	v_mad_co_u64_u32 v[4:5], null, s8, v9, 0
	;; [unrolled: 1-line block ×3, first 2 shown]
	v_add_nc_u32_e32 v25, 0x1bc, v34
	s_mov_b32 s2, exec_lo
	s_delay_alu instid0(VALU_DEP_4) | instskip(SKIP_3) | instid1(VALU_DEP_3)
	v_mad_co_u64_u32 v[6:7], null, s9, v34, v[1:2]
	v_mov_b32_e32 v1, v3
	v_dual_mov_b32 v3, v5 :: v_dual_add_nc_u32 v18, 0xb4, v34
	v_mad_co_u64_u32 v[22:23], null, s8, v25, 0
	v_mad_co_u64_u32 v[7:8], null, s9, v8, v[1:2]
	v_dual_mov_b32 v1, v6 :: v_dual_add_nc_u32 v24, 0x138, v34
	s_delay_alu instid0(VALU_DEP_4) | instskip(SKIP_1) | instid1(VALU_DEP_4)
	v_mad_co_u64_u32 v[5:6], null, s9, v9, v[3:4]
	v_mad_co_u64_u32 v[9:10], null, s8, v13, 0
	v_mov_b32_e32 v3, v7
	v_add_co_u32 v8, s0, s10, v20
	v_mad_co_u64_u32 v[15:16], null, s8, v24, 0
	v_lshlrev_b64_e32 v[0:1], 3, v[0:1]
	v_mov_b32_e32 v6, v10
	s_wait_alu 0xf1ff
	v_add_co_ci_u32_e64 v17, s0, s11, v21, s0
	v_lshlrev_b64_e32 v[4:5], 3, v[4:5]
                                        ; implicit-def: $vgpr27
	s_delay_alu instid0(VALU_DEP_3)
	v_mad_co_u64_u32 v[6:7], null, s9, v13, v[6:7]
	v_mad_co_u64_u32 v[13:14], null, s8, v18, 0
	v_mov_b32_e32 v7, v12
	v_add_co_u32 v0, s0, v8, v0
	s_wait_alu 0xf1ff
	v_add_co_ci_u32_e64 v1, s0, v17, v1, s0
	v_mov_b32_e32 v10, v6
	v_mad_co_u64_u32 v[6:7], null, s9, v29, v[7:8]
	v_mov_b32_e32 v7, v14
	s_delay_alu instid0(VALU_DEP_3) | instskip(NEXT) | instid1(VALU_DEP_2)
	v_lshlrev_b64_e32 v[9:10], 3, v[9:10]
	v_mad_co_u64_u32 v[18:19], null, s9, v18, v[7:8]
	s_delay_alu instid0(VALU_DEP_4) | instskip(SKIP_1) | instid1(VALU_DEP_2)
	v_dual_mov_b32 v7, v16 :: v_dual_mov_b32 v12, v6
	v_lshlrev_b64_e32 v[2:3], 3, v[2:3]
	v_mad_co_u64_u32 v[6:7], null, s9, v24, v[7:8]
	v_mov_b32_e32 v7, v23
	s_delay_alu instid0(VALU_DEP_3)
	v_add_co_u32 v2, s0, v8, v2
	v_mov_b32_e32 v14, v18
	s_wait_alu 0xf1ff
	v_add_co_ci_u32_e64 v3, s0, v17, v3, s0
	v_mad_co_u64_u32 v[18:19], null, s9, v25, v[7:8]
	v_add_co_u32 v4, s0, v8, v4
	v_lshlrev_b64_e32 v[11:12], 3, v[11:12]
	s_wait_alu 0xf1ff
	v_add_co_ci_u32_e64 v5, s0, v17, v5, s0
	v_add_co_u32 v9, s0, v8, v9
	v_lshlrev_b64_e32 v[13:14], 3, v[13:14]
	v_mov_b32_e32 v16, v6
	s_wait_alu 0xf1ff
	v_add_co_ci_u32_e64 v10, s0, v17, v10, s0
	v_add_co_u32 v6, s0, v8, v11
	v_mov_b32_e32 v23, v18
	s_wait_alu 0xf1ff
	v_add_co_ci_u32_e64 v7, s0, v17, v12, s0
	v_lshlrev_b64_e32 v[11:12], 3, v[15:16]
	v_add_co_u32 v15, s0, v8, v13
	s_wait_alu 0xf1ff
	v_add_co_ci_u32_e64 v16, s0, v17, v14, s0
	v_lshlrev_b64_e32 v[13:14], 3, v[22:23]
	s_delay_alu instid0(VALU_DEP_4) | instskip(SKIP_2) | instid1(VALU_DEP_3)
	v_add_co_u32 v18, s0, v8, v11
	s_wait_alu 0xf1ff
	v_add_co_ci_u32_e64 v19, s0, v17, v12, s0
                                        ; implicit-def: $vgpr25
	v_add_co_u32 v22, s0, v8, v13
	s_wait_alu 0xf1ff
	v_add_co_ci_u32_e64 v23, s0, v17, v14, s0
	s_clause 0x7
	global_load_b64 v[0:1], v[0:1], off
	global_load_b64 v[11:12], v[2:3], off
	;; [unrolled: 1-line block ×8, first 2 shown]
	v_mov_b32_e32 v18, 0
	v_dual_mov_b32 v22, 0 :: v_dual_mov_b32 v23, 0
	v_mov_b32_e32 v19, 0
	v_cmpx_gt_u32_e32 36, v34
	s_cbranch_execz .LBB0_14
; %bb.13:
	v_add_nc_u32_e32 v28, 0x60, v34
	v_add_nc_u32_e32 v32, 0xe4, v34
	;; [unrolled: 1-line block ×4, first 2 shown]
	s_delay_alu instid0(VALU_DEP_4) | instskip(NEXT) | instid1(VALU_DEP_4)
	v_mad_co_u64_u32 v[18:19], null, s8, v28, 0
	v_mad_co_u64_u32 v[22:23], null, s8, v32, 0
	s_delay_alu instid0(VALU_DEP_4) | instskip(NEXT) | instid1(VALU_DEP_4)
	v_mad_co_u64_u32 v[24:25], null, s8, v33, 0
	v_mad_co_u64_u32 v[26:27], null, s8, v35, 0
	s_delay_alu instid0(VALU_DEP_4) | instskip(NEXT) | instid1(VALU_DEP_3)
	v_mad_co_u64_u32 v[30:31], null, s9, v28, v[19:20]
	v_mad_co_u64_u32 v[31:32], null, s9, v32, v[23:24]
	s_delay_alu instid0(VALU_DEP_3) | instskip(NEXT) | instid1(VALU_DEP_3)
	v_mad_co_u64_u32 v[32:33], null, s9, v33, v[25:26]
	v_mov_b32_e32 v19, v30
	v_mad_co_u64_u32 v[27:28], null, s9, v35, v[27:28]
	s_delay_alu instid0(VALU_DEP_4) | instskip(NEXT) | instid1(VALU_DEP_3)
	v_mov_b32_e32 v23, v31
	v_lshlrev_b64_e32 v[18:19], 3, v[18:19]
	v_mov_b32_e32 v25, v32
	s_delay_alu instid0(VALU_DEP_3) | instskip(SKIP_1) | instid1(VALU_DEP_3)
	v_lshlrev_b64_e32 v[22:23], 3, v[22:23]
	v_lshlrev_b64_e32 v[26:27], 3, v[26:27]
	v_lshlrev_b64_e32 v[24:25], 3, v[24:25]
	v_add_co_u32 v18, s0, v8, v18
	s_wait_alu 0xf1ff
	v_add_co_ci_u32_e64 v19, s0, v17, v19, s0
	v_add_co_u32 v22, s0, v8, v22
	s_wait_alu 0xf1ff
	v_add_co_ci_u32_e64 v23, s0, v17, v23, s0
	;; [unrolled: 3-line block ×4, first 2 shown]
	s_clause 0x3
	global_load_b64 v[18:19], v[18:19], off
	global_load_b64 v[22:23], v[22:23], off
	;; [unrolled: 1-line block ×4, first 2 shown]
.LBB0_14:
	s_wait_alu 0xfffe
	s_or_b32 exec_lo, exec_lo, s2
	v_mov_b32_e32 v38, v34
.LBB0_15:
	s_or_b32 exec_lo, exec_lo, s1
	s_wait_loadcnt 0x1
	v_dual_sub_f32 v17, v0, v13 :: v_dual_sub_f32 v30, v2, v15
	v_dual_sub_f32 v13, v11, v4 :: v_dual_sub_f32 v32, v12, v5
	v_sub_f32_e32 v33, v18, v25
	s_delay_alu instid0(VALU_DEP_3)
	v_fma_f32 v0, v0, 2.0, -v17
	s_wait_loadcnt 0x0
	v_sub_f32_e32 v15, v22, v27
	v_fma_f32 v4, v11, 2.0, -v13
	v_sub_f32_e32 v11, v9, v6
	v_sub_f32_e32 v31, v10, v7
	v_fma_f32 v2, v2, 2.0, -v30
	v_fma_f32 v5, v22, 2.0, -v15
	v_sub_f32_e32 v22, v23, v28
	v_sub_f32_e32 v6, v0, v4
	v_fma_f32 v4, v9, 2.0, -v11
	v_add_nc_u32_e32 v28, 0x60, v34
	v_fma_f32 v18, v18, 2.0, -v33
	v_add_f32_e32 v7, v17, v32
	v_add_f32_e32 v25, v30, v31
	v_sub_f32_e32 v24, v2, v4
	v_fma_f32 v8, v0, 2.0, -v6
	v_dual_sub_f32 v4, v18, v5 :: v_dual_add_f32 v5, v33, v22
	v_fma_f32 v9, v17, 2.0, -v7
	s_delay_alu instid0(VALU_DEP_4) | instskip(SKIP_1) | instid1(VALU_DEP_4)
	v_fma_f32 v35, v2, 2.0, -v24
	v_lshl_add_u32 v27, v34, 4, 0
	v_fma_f32 v17, v18, 2.0, -v4
	v_fma_f32 v18, v33, 2.0, -v5
	v_lshl_add_u32 v0, v29, 4, 0
	v_cmp_gt_u32_e64 s0, 36, v34
	v_lshl_add_u32 v2, v28, 4, 0
	v_fma_f32 v36, v30, 2.0, -v25
	ds_store_2addr_b64 v27, v[8:9], v[6:7] offset1:1
	ds_store_2addr_b64 v0, v[35:36], v[24:25] offset1:1
	s_and_saveexec_b32 s1, s0
	s_cbranch_execz .LBB0_17
; %bb.16:
	ds_store_2addr_b64 v2, v[17:18], v[4:5] offset1:1
.LBB0_17:
	s_wait_alu 0xfffe
	s_or_b32 exec_lo, exec_lo, s1
	v_mad_i32_i24 v33, v34, -12, v27
	v_mad_i32_i24 v30, v29, -12, v0
	global_wb scope:SCOPE_SE
	s_wait_dscnt 0x0
	s_barrier_signal -1
	s_barrier_wait -1
	v_add_nc_u32_e32 v6, 0x200, v33
	v_add_nc_u32_e32 v7, 0x400, v33
	global_inv scope:SCOPE_SE
	v_mul_i32_i24_e32 v35, -12, v34
	ds_load_2addr_b32 v[24:25], v33 offset1:132
	ds_load_2addr_b32 v[8:9], v6 offset0:52 offset1:136
	ds_load_2addr_b32 v[6:7], v7 offset0:56 offset1:140
	ds_load_b32 v30, v30
	ds_load_b32 v33, v33 offset:1776
	v_add_nc_u32_e32 v39, v27, v35
	s_and_saveexec_b32 s1, s0
	s_cbranch_execz .LBB0_19
; %bb.18:
	s_delay_alu instid0(VALU_DEP_1)
	v_add_nc_u32_e32 v4, 0x400, v39
	ds_load_2addr_b32 v[17:18], v39 offset0:96 offset1:228
	ds_load_2addr_b32 v[4:5], v4 offset0:104 offset1:236
.LBB0_19:
	s_wait_alu 0xfffe
	s_or_b32 exec_lo, exec_lo, s1
	v_sub_f32_e32 v26, v19, v26
	v_sub_f32_e32 v36, v1, v14
	;; [unrolled: 1-line block ×3, first 2 shown]
	v_fma_f32 v12, v12, 2.0, -v32
	v_fma_f32 v35, v23, 2.0, -v22
	;; [unrolled: 1-line block ×3, first 2 shown]
	v_sub_f32_e32 v23, v36, v13
	v_sub_f32_e32 v13, v26, v15
	v_fma_f32 v1, v1, 2.0, -v36
	v_fma_f32 v10, v10, 2.0, -v31
	;; [unrolled: 1-line block ×3, first 2 shown]
	v_sub_f32_e32 v32, v16, v11
	v_mul_i32_i24_e32 v14, -12, v29
	v_sub_f32_e32 v22, v1, v12
	v_sub_f32_e32 v12, v19, v35
	;; [unrolled: 1-line block ×3, first 2 shown]
	v_fma_f32 v36, v36, 2.0, -v23
	v_fma_f32 v11, v26, 2.0, -v13
	;; [unrolled: 1-line block ×6, first 2 shown]
	global_wb scope:SCOPE_SE
	s_wait_dscnt 0x0
	s_barrier_signal -1
	s_barrier_wait -1
	global_inv scope:SCOPE_SE
	ds_store_2addr_b64 v27, v[35:36], v[22:23] offset1:1
	ds_store_2addr_b64 v0, v[15:16], v[31:32] offset1:1
	s_and_saveexec_b32 s1, s0
	s_cbranch_execz .LBB0_21
; %bb.20:
	ds_store_2addr_b64 v2, v[10:11], v[12:13] offset1:1
.LBB0_21:
	s_wait_alu 0xfffe
	s_or_b32 exec_lo, exec_lo, s1
	v_add_nc_u32_e32 v2, 0x200, v39
	v_add_nc_u32_e32 v1, 0x400, v39
	;; [unrolled: 1-line block ×3, first 2 shown]
	global_wb scope:SCOPE_SE
	s_wait_dscnt 0x0
	s_barrier_signal -1
	s_barrier_wait -1
	global_inv scope:SCOPE_SE
	ds_load_2addr_b32 v[14:15], v39 offset1:132
	ds_load_2addr_b32 v[26:27], v2 offset0:52 offset1:136
	ds_load_2addr_b32 v[22:23], v1 offset0:56 offset1:140
	ds_load_b32 v31, v36
	ds_load_b32 v16, v39 offset:1776
	v_lshlrev_b32_e32 v35, 2, v34
	v_lshlrev_b32_e32 v19, 2, v29
	s_and_saveexec_b32 s1, s0
	s_cbranch_execz .LBB0_23
; %bb.22:
	ds_load_2addr_b32 v[10:11], v39 offset0:96 offset1:228
	ds_load_2addr_b32 v[12:13], v1 offset0:104 offset1:236
.LBB0_23:
	s_wait_alu 0xfffe
	s_or_b32 exec_lo, exec_lo, s1
	v_and_b32_e32 v32, 3, v34
	s_delay_alu instid0(VALU_DEP_1) | instskip(SKIP_1) | instid1(VALU_DEP_2)
	v_mul_u32_u24_e32 v0, 3, v32
	v_and_or_b32 v19, 0x1f0, v19, v32
	v_lshlrev_b32_e32 v37, 3, v0
	s_delay_alu instid0(VALU_DEP_2)
	v_lshl_add_u32 v40, v19, 2, 0
	s_clause 0x1
	global_load_b128 v[0:3], v37, s[4:5]
	global_load_b64 v[44:45], v37, s[4:5] offset:16
	v_lshlrev_b32_e32 v37, 2, v28
	global_wb scope:SCOPE_SE
	s_wait_loadcnt_dscnt 0x0
	s_barrier_signal -1
	s_barrier_wait -1
	global_inv scope:SCOPE_SE
	v_mul_f32_e32 v19, v15, v1
	v_mul_f32_e32 v42, v7, v45
	v_and_or_b32 v35, 0xf0, v35, v32
	v_dual_mul_f32 v47, v23, v45 :: v_dual_mul_f32 v54, v12, v3
	s_delay_alu instid0(VALU_DEP_4) | instskip(NEXT) | instid1(VALU_DEP_3)
	v_dual_mul_f32 v48, v26, v1 :: v_dual_fmac_f32 v19, v25, v0
	v_lshl_add_u32 v41, v35, 2, 0
	v_dual_mul_f32 v35, v25, v1 :: v_dual_mul_f32 v50, v22, v3
	v_dual_mul_f32 v51, v16, v45 :: v_dual_mul_f32 v46, v27, v3
	v_mul_f32_e32 v49, v8, v1
	v_dual_mul_f32 v52, v33, v45 :: v_dual_fmac_f32 v47, v7, v44
	v_dual_mul_f32 v53, v11, v1 :: v_dual_fmac_f32 v48, v8, v0
	;; [unrolled: 1-line block ×3, first 2 shown]
	v_fma_f32 v43, v15, v0, -v35
	v_fma_f32 v7, v23, v44, -v42
	v_dual_mul_f32 v55, v13, v45 :: v_dual_fmac_f32 v50, v6, v2
	v_fmac_f32_e32 v51, v33, v44
	v_mul_f32_e32 v45, v5, v45
	v_fmac_f32_e32 v46, v9, v2
	v_fma_f32 v42, v26, v0, -v49
	v_fmac_f32_e32 v53, v18, v0
	v_fma_f32 v33, v11, v0, -v1
	v_sub_f32_e32 v26, v48, v51
	v_fma_f32 v0, v13, v44, -v45
	v_fma_f32 v8, v16, v44, -v52
	v_dual_sub_f32 v1, v24, v46 :: v_dual_sub_f32 v46, v43, v7
	v_fmac_f32_e32 v55, v5, v44
	s_delay_alu instid0(VALU_DEP_4) | instskip(SKIP_1) | instid1(VALU_DEP_4)
	v_dual_sub_f32 v44, v33, v0 :: v_dual_sub_f32 v5, v19, v47
	v_sub_f32_e32 v15, v30, v50
	v_dual_add_f32 v16, v1, v46 :: v_dual_sub_f32 v45, v42, v8
	v_sub_f32_e32 v8, v17, v54
	v_sub_f32_e32 v11, v53, v55
	v_fma_f32 v0, v24, 2.0, -v1
	v_fma_f32 v13, v19, 2.0, -v5
	;; [unrolled: 1-line block ×6, first 2 shown]
	v_sub_f32_e32 v24, v0, v13
	v_add_f32_e32 v13, v8, v44
	v_add_f32_e32 v23, v15, v45
	v_sub_f32_e32 v19, v18, v19
	v_fma_f32 v25, v1, 2.0, -v16
	v_fma_f32 v30, v0, 2.0, -v24
	v_sub_f32_e32 v1, v7, v17
	v_fma_f32 v0, v8, 2.0, -v13
	v_fma_f32 v15, v15, 2.0, -v23
	;; [unrolled: 1-line block ×3, first 2 shown]
	ds_store_2addr_b32 v41, v24, v16 offset0:8 offset1:12
	ds_store_2addr_b32 v41, v30, v25 offset1:4
	ds_store_2addr_b32 v40, v18, v15 offset1:4
	ds_store_2addr_b32 v40, v19, v23 offset0:8 offset1:12
	s_and_saveexec_b32 s1, s0
	s_cbranch_execz .LBB0_25
; %bb.24:
	v_and_or_b32 v8, 0x3f0, v37, v32
	v_fma_f32 v7, v7, 2.0, -v1
	s_delay_alu instid0(VALU_DEP_2)
	v_lshl_add_u32 v8, v8, 2, 0
	ds_store_2addr_b32 v8, v7, v0 offset1:4
	ds_store_2addr_b32 v8, v1, v13 offset0:8 offset1:12
.LBB0_25:
	s_wait_alu 0xfffe
	s_or_b32 exec_lo, exec_lo, s1
	v_add_nc_u32_e32 v15, 0x400, v39
	v_add_nc_u32_e32 v16, 0x200, v39
	v_lshl_add_u32 v35, v34, 2, 0
	global_wb scope:SCOPE_SE
	s_wait_dscnt 0x0
	s_barrier_signal -1
	s_barrier_wait -1
	global_inv scope:SCOPE_SE
	ds_load_2addr_b32 v[7:8], v39 offset1:176
	ds_load_2addr_b32 v[17:18], v15 offset0:96 offset1:144
	ds_load_2addr_b32 v[15:16], v16 offset0:96 offset1:144
	ds_load_b32 v25, v39 offset:1792
	ds_load_b32 v23, v36
	ds_load_b32 v19, v35 offset:384
	v_cmp_gt_u32_e64 s1, 32, v34
	s_delay_alu instid0(VALU_DEP_1)
	s_and_saveexec_b32 s2, s1
	s_cbranch_execz .LBB0_27
; %bb.26:
	v_add_nc_u32_e32 v0, 0x200, v35
	ds_load_2addr_b32 v[0:1], v0 offset0:16 offset1:192
	ds_load_b32 v13, v39 offset:1984
.LBB0_27:
	s_wait_alu 0xfffe
	s_or_b32 exec_lo, exec_lo, s2
	v_mul_f32_e32 v9, v9, v3
	v_fma_f32 v24, v42, 2.0, -v45
	global_wb scope:SCOPE_SE
	s_wait_dscnt 0x0
	s_barrier_signal -1
	s_barrier_wait -1
	v_fma_f32 v9, v27, v2, -v9
	v_fma_f32 v27, v33, 2.0, -v44
	global_inv scope:SCOPE_SE
	v_sub_f32_e32 v9, v14, v9
	v_mul_f32_e32 v6, v6, v3
	v_mul_f32_e32 v3, v4, v3
	v_fma_f32 v4, v43, 2.0, -v46
	s_delay_alu instid0(VALU_DEP_4) | instskip(NEXT) | instid1(VALU_DEP_4)
	v_sub_f32_e32 v5, v9, v5
	v_fma_f32 v6, v22, v2, -v6
	s_delay_alu instid0(VALU_DEP_4) | instskip(NEXT) | instid1(VALU_DEP_2)
	v_fma_f32 v2, v12, v2, -v3
	v_sub_f32_e32 v3, v31, v6
	v_fma_f32 v6, v14, 2.0, -v9
	s_delay_alu instid0(VALU_DEP_3) | instskip(NEXT) | instid1(VALU_DEP_3)
	v_sub_f32_e32 v2, v10, v2
	v_fma_f32 v12, v31, 2.0, -v3
	v_sub_f32_e32 v14, v3, v26
	s_delay_alu instid0(VALU_DEP_4) | instskip(NEXT) | instid1(VALU_DEP_4)
	v_sub_f32_e32 v26, v6, v4
	v_fma_f32 v4, v10, 2.0, -v2
	v_sub_f32_e32 v22, v2, v11
	v_sub_f32_e32 v10, v12, v24
	v_fma_f32 v9, v9, 2.0, -v5
	v_fma_f32 v6, v6, 2.0, -v26
	;; [unrolled: 1-line block ×3, first 2 shown]
	v_sub_f32_e32 v3, v4, v27
	v_fma_f32 v2, v2, 2.0, -v22
	v_fma_f32 v12, v12, 2.0, -v10
	ds_store_2addr_b32 v41, v6, v9 offset1:4
	ds_store_2addr_b32 v41, v26, v5 offset0:8 offset1:12
	ds_store_2addr_b32 v40, v12, v11 offset1:4
	ds_store_2addr_b32 v40, v10, v14 offset0:8 offset1:12
	s_and_saveexec_b32 s2, s0
	s_cbranch_execz .LBB0_29
; %bb.28:
	v_and_or_b32 v5, 0x3f0, v37, v32
	v_fma_f32 v4, v4, 2.0, -v3
	s_delay_alu instid0(VALU_DEP_2)
	v_lshl_add_u32 v5, v5, 2, 0
	ds_store_2addr_b32 v5, v4, v2 offset1:4
	ds_store_2addr_b32 v5, v3, v22 offset0:8 offset1:12
.LBB0_29:
	s_wait_alu 0xfffe
	s_or_b32 exec_lo, exec_lo, s2
	v_add_nc_u32_e32 v6, 0x400, v39
	v_add_nc_u32_e32 v9, 0x200, v39
	global_wb scope:SCOPE_SE
	s_wait_dscnt 0x0
	s_barrier_signal -1
	s_barrier_wait -1
	global_inv scope:SCOPE_SE
	ds_load_2addr_b32 v[4:5], v39 offset1:176
	ds_load_2addr_b32 v[11:12], v6 offset0:96 offset1:144
	ds_load_2addr_b32 v[9:10], v9 offset0:96 offset1:144
	ds_load_b32 v26, v39 offset:1792
	ds_load_b32 v14, v36
	ds_load_b32 v6, v35 offset:384
	s_and_saveexec_b32 s0, s1
	s_cbranch_execz .LBB0_31
; %bb.30:
	v_add_nc_u32_e32 v2, 0x200, v35
	ds_load_2addr_b32 v[2:3], v2 offset0:16 offset1:192
	ds_load_b32 v22, v39 offset:1984
.LBB0_31:
	s_wait_alu 0xfffe
	s_or_b32 exec_lo, exec_lo, s0
	v_and_b32_e32 v24, 15, v34
	v_lshrrev_b32_e32 v28, 4, v28
	s_delay_alu instid0(VALU_DEP_2) | instskip(NEXT) | instid1(VALU_DEP_2)
	v_lshlrev_b32_e32 v27, 4, v24
	v_mul_u32_u24_e32 v28, 48, v28
	global_load_b128 v[48:51], v27, s[4:5] offset:96
	v_lshrrev_b32_e32 v27, 4, v29
	v_lshrrev_b32_e32 v29, 4, v34
	v_add_nc_u32_e32 v30, 0x90, v34
	global_wb scope:SCOPE_SE
	s_wait_loadcnt_dscnt 0x0
	s_barrier_signal -1
	v_mul_lo_u32 v27, v27, 48
	v_mul_u32_u24_e32 v29, 48, v29
	s_barrier_wait -1
	global_inv scope:SCOPE_SE
	v_or_b32_e32 v29, v29, v24
	s_delay_alu instid0(VALU_DEP_1)
	v_lshl_add_u32 v44, v29, 2, 0
	v_mul_f32_e32 v31, v8, v49
	v_mul_f32_e32 v29, v5, v49
	v_or_b32_e32 v28, v28, v24
	v_or_b32_e32 v27, v27, v24
	v_lshrrev_b32_e32 v37, 4, v30
	v_mul_f32_e32 v30, v11, v51
	v_dual_mul_f32 v32, v17, v51 :: v_dual_mul_f32 v33, v15, v49
	v_lshl_add_u32 v43, v28, 2, 0
	v_lshl_add_u32 v45, v27, 2, 0
	v_dual_mul_f32 v27, v9, v49 :: v_dual_mul_f32 v28, v12, v51
	v_dual_mul_f32 v40, v18, v51 :: v_dual_mul_f32 v41, v3, v49
	;; [unrolled: 1-line block ×4, first 2 shown]
	v_dual_fmac_f32 v29, v8, v48 :: v_dual_fmac_f32 v30, v17, v50
	v_dual_mul_f32 v49, v1, v49 :: v_dual_mul_f32 v42, v22, v51
	v_dual_mul_f32 v51, v13, v51 :: v_dual_fmac_f32 v28, v18, v50
	v_fmac_f32_e32 v27, v15, v48
	v_fma_f32 v31, v5, v48, -v31
	s_delay_alu instid0(VALU_DEP_4)
	v_fmac_f32_e32 v42, v13, v50
	v_fma_f32 v15, v9, v48, -v33
	v_fma_f32 v5, v12, v50, -v40
	v_dual_fmac_f32 v46, v16, v48 :: v_dual_fmac_f32 v47, v25, v50
	v_fma_f32 v11, v11, v50, -v32
	v_add_f32_e32 v12, v29, v30
	v_fma_f32 v9, v10, v48, -v52
	v_dual_fmac_f32 v41, v1, v48 :: v_dual_add_f32 v10, v7, v29
	v_add_f32_e32 v17, v27, v28
	v_fma_f32 v8, v26, v50, -v53
	v_dual_sub_f32 v18, v15, v5 :: v_dual_add_f32 v25, v46, v47
	v_sub_f32_e32 v13, v31, v11
	v_dual_add_f32 v16, v23, v27 :: v_dual_fmac_f32 v7, -0.5, v12
	v_fma_f32 v1, v22, v50, -v51
	v_add_f32_e32 v10, v10, v30
	v_dual_add_f32 v22, v19, v46 :: v_dual_fmac_f32 v23, -0.5, v17
	v_dual_sub_f32 v26, v9, v8 :: v_dual_fmac_f32 v19, -0.5, v25
	v_fma_f32 v3, v3, v48, -v49
	v_dual_add_f32 v12, v16, v28 :: v_dual_fmamk_f32 v17, v13, 0xbf5db3d7, v7
	s_delay_alu instid0(VALU_DEP_4)
	v_dual_add_f32 v16, v22, v47 :: v_dual_fmac_f32 v7, 0x3f5db3d7, v13
	v_fmamk_f32 v13, v18, 0xbf5db3d7, v23
	v_fmac_f32_e32 v23, 0x3f5db3d7, v18
	v_fmamk_f32 v18, v26, 0xbf5db3d7, v19
	v_fmac_f32_e32 v19, 0x3f5db3d7, v26
	ds_store_2addr_b32 v44, v10, v17 offset1:16
	ds_store_b32 v44, v7 offset:128
	ds_store_2addr_b32 v45, v12, v13 offset1:16
	ds_store_b32 v45, v23 offset:128
	ds_store_2addr_b32 v43, v16, v18 offset1:16
	ds_store_b32 v43, v19 offset:128
	s_and_saveexec_b32 s0, s1
	s_cbranch_execz .LBB0_33
; %bb.32:
	v_mul_u32_u24_e32 v7, 48, v37
	v_dual_add_f32 v10, v41, v42 :: v_dual_add_f32 v13, v0, v41
	v_sub_f32_e32 v12, v3, v1
	s_delay_alu instid0(VALU_DEP_3) | instskip(NEXT) | instid1(VALU_DEP_3)
	v_or_b32_e32 v7, v7, v24
	v_fma_f32 v0, -0.5, v10, v0
	s_delay_alu instid0(VALU_DEP_4) | instskip(NEXT) | instid1(VALU_DEP_3)
	v_add_f32_e32 v10, v13, v42
	v_lshl_add_u32 v7, v7, 2, 0
	s_delay_alu instid0(VALU_DEP_3)
	v_fmamk_f32 v13, v12, 0x3f5db3d7, v0
	v_fmac_f32_e32 v0, 0xbf5db3d7, v12
	ds_store_2addr_b32 v7, v10, v0 offset1:16
	ds_store_b32 v7, v13 offset:128
.LBB0_33:
	s_wait_alu 0xfffe
	s_or_b32 exec_lo, exec_lo, s0
	v_dual_add_f32 v7, v4, v31 :: v_dual_sub_f32 v10, v29, v30
	v_add_f32_e32 v0, v31, v11
	v_add_f32_e32 v12, v15, v5
	global_wb scope:SCOPE_SE
	s_wait_dscnt 0x0
	v_sub_f32_e32 v13, v27, v28
	s_barrier_signal -1
	v_dual_fmac_f32 v4, -0.5, v0 :: v_dual_add_f32 v7, v7, v11
	v_add_f32_e32 v0, v14, v15
	v_dual_fmac_f32 v14, -0.5, v12 :: v_dual_add_nc_u32 v15, 0x400, v39
	v_add_nc_u32_e32 v12, 0x200, v39
	s_barrier_wait -1
	global_inv scope:SCOPE_SE
	ds_load_2addr_stride64_b32 v[22:23], v39 offset1:3
	ds_load_b32 v40, v36
	ds_load_2addr_b32 v[30:31], v35 offset0:96 offset1:144
	ds_load_2addr_b32 v[26:27], v12 offset0:112 offset1:160
	;; [unrolled: 1-line block ×4, first 2 shown]
	v_fmamk_f32 v11, v10, 0x3f5db3d7, v4
	v_fmac_f32_e32 v4, 0xbf5db3d7, v10
	v_dual_add_f32 v10, v9, v8 :: v_dual_add_f32 v9, v6, v9
	global_wb scope:SCOPE_SE
	s_wait_dscnt 0x0
	s_barrier_signal -1
	s_barrier_wait -1
	v_fmac_f32_e32 v6, -0.5, v10
	v_sub_f32_e32 v10, v46, v47
	v_dual_add_f32 v0, v0, v5 :: v_dual_fmamk_f32 v5, v13, 0x3f5db3d7, v14
	v_fmac_f32_e32 v14, 0xbf5db3d7, v13
	s_delay_alu instid0(VALU_DEP_3)
	v_dual_add_f32 v8, v9, v8 :: v_dual_fmamk_f32 v9, v10, 0x3f5db3d7, v6
	v_fmac_f32_e32 v6, 0xbf5db3d7, v10
	global_inv scope:SCOPE_SE
	ds_store_2addr_b32 v44, v7, v11 offset1:16
	ds_store_b32 v44, v4 offset:128
	ds_store_2addr_b32 v45, v0, v5 offset1:16
	ds_store_b32 v45, v14 offset:128
	;; [unrolled: 2-line block ×3, first 2 shown]
	s_and_saveexec_b32 s0, s1
	s_cbranch_execz .LBB0_35
; %bb.34:
	v_dual_add_f32 v0, v3, v1 :: v_dual_add_f32 v3, v2, v3
	v_mul_u32_u24_e32 v4, 48, v37
	s_delay_alu instid0(VALU_DEP_2) | instskip(NEXT) | instid1(VALU_DEP_3)
	v_dual_sub_f32 v5, v41, v42 :: v_dual_fmac_f32 v2, -0.5, v0
	v_add_f32_e32 v1, v3, v1
	s_delay_alu instid0(VALU_DEP_3) | instskip(NEXT) | instid1(VALU_DEP_3)
	v_or_b32_e32 v0, v4, v24
	v_fmamk_f32 v3, v5, 0x3f5db3d7, v2
	v_fmamk_f32 v2, v5, 0xbf5db3d7, v2
	s_delay_alu instid0(VALU_DEP_3)
	v_lshl_add_u32 v0, v0, 2, 0
	ds_store_2addr_b32 v0, v1, v3 offset1:16
	ds_store_b32 v0, v2 offset:128
.LBB0_35:
	s_wait_alu 0xfffe
	s_or_b32 exec_lo, exec_lo, s0
	global_wb scope:SCOPE_SE
	s_wait_dscnt 0x0
	s_barrier_signal -1
	s_barrier_wait -1
	global_inv scope:SCOPE_SE
	s_and_saveexec_b32 s0, vcc_lo
	s_cbranch_execz .LBB0_37
; %bb.36:
	v_mul_u32_u24_e32 v0, 10, v34
	v_add_nc_u32_e32 v54, 48, v38
	v_or_b32_e32 v61, 0xc0, v38
	v_add_nc_u32_e32 v60, 0x90, v38
	v_add_co_u32 v20, vcc_lo, s10, v20
	s_delay_alu instid0(VALU_DEP_4) | instskip(SKIP_1) | instid1(VALU_DEP_4)
	v_mad_co_u64_u32 v[43:44], null, s8, v54, 0
	v_lshlrev_b32_e32 v0, 3, v0
	v_mad_co_u64_u32 v[47:48], null, s8, v60, 0
	s_clause 0x4
	global_load_b128 v[8:11], v0, s[4:5] offset:352
	global_load_b128 v[16:19], v0, s[4:5] offset:416
	;; [unrolled: 1-line block ×5, first 2 shown]
	ds_load_b32 v41, v36
	v_mad_co_u64_u32 v[36:37], null, s8, v38, 0
	ds_load_2addr_stride64_b32 v[24:25], v39 offset1:3
	ds_load_2addr_b32 v[34:35], v35 offset0:96 offset1:144
	v_add_nc_u32_e32 v62, 0xf0, v38
	s_wait_alu 0xfffd
	v_add_co_ci_u32_e32 v21, vcc_lo, s11, v21, vcc_lo
	v_mad_co_u64_u32 v[51:52], null, s9, v38, v[37:38]
	v_mad_co_u64_u32 v[52:53], null, s8, v61, 0
	v_add_nc_u32_e32 v57, 0x60, v38
	v_mov_b32_e32 v37, v44
	s_delay_alu instid0(VALU_DEP_2) | instskip(NEXT) | instid1(VALU_DEP_2)
	v_mad_co_u64_u32 v[45:46], null, s8, v57, 0
	v_mad_co_u64_u32 v[54:55], null, s9, v54, v[37:38]
	v_add_nc_u32_e32 v42, 0x400, v39
	v_add_nc_u32_e32 v59, 0x200, v39
	v_mov_b32_e32 v37, v51
	v_mov_b32_e32 v39, v46
	ds_load_2addr_b32 v[49:50], v42 offset0:176 offset1:224
	v_mov_b32_e32 v44, v54
	ds_load_2addr_b32 v[55:56], v42 offset0:80 offset1:128
	v_mov_b32_e32 v42, v53
	v_mad_co_u64_u32 v[57:58], null, s9, v57, v[39:40]
	ds_load_2addr_b32 v[58:59], v59 offset0:112 offset1:160
	v_mov_b32_e32 v39, v48
	v_lshlrev_b64_e32 v[36:37], 3, v[36:37]
	v_lshlrev_b64_e32 v[43:44], 3, v[43:44]
	s_delay_alu instid0(VALU_DEP_3) | instskip(SKIP_1) | instid1(VALU_DEP_4)
	v_mad_co_u64_u32 v[53:54], null, s9, v60, v[39:40]
	v_mov_b32_e32 v46, v57
	v_add_co_u32 v36, vcc_lo, v20, v36
	s_wait_alu 0xfffd
	v_add_co_ci_u32_e32 v37, vcc_lo, v21, v37, vcc_lo
	v_add_co_u32 v43, vcc_lo, v20, v43
	s_wait_alu 0xfffd
	v_add_co_ci_u32_e32 v44, vcc_lo, v21, v44, vcc_lo
	s_wait_loadcnt 0x4
	v_mul_f32_e32 v51, v30, v10
	s_wait_loadcnt 0x3
	v_dual_mul_f32 v39, v40, v8 :: v_dual_mul_f32 v48, v33, v18
	s_wait_loadcnt 0x2
	v_mul_f32_e32 v57, v31, v4
	v_dual_mul_f32 v33, v33, v19 :: v_dual_mul_f32 v40, v40, v9
	v_mul_f32_e32 v54, v32, v16
	v_dual_mul_f32 v32, v32, v17 :: v_dual_mul_f32 v63, v23, v6
	v_dual_mul_f32 v30, v30, v11 :: v_dual_mul_f32 v31, v31, v5
	s_wait_loadcnt 0x1
	v_dual_mul_f32 v60, v29, v14 :: v_dual_mul_f32 v23, v23, v7
	v_mul_f32_e32 v64, v28, v12
	s_wait_loadcnt 0x0
	v_dual_mul_f32 v28, v28, v13 :: v_dual_mul_f32 v65, v26, v0
	s_wait_dscnt 0x5
	v_dual_mul_f32 v66, v27, v2 :: v_dual_fmac_f32 v39, v41, v9
	v_mul_f32_e32 v29, v29, v15
	v_dual_mul_f32 v27, v27, v3 :: v_dual_mul_f32 v26, v26, v1
	s_wait_dscnt 0x4
	v_fmac_f32_e32 v63, v25, v7
	s_wait_dscnt 0x2
	v_dual_fmac_f32 v48, v50, v19 :: v_dual_fmac_f32 v57, v35, v5
	v_fma_f32 v18, v50, v18, -v33
	v_fma_f32 v8, v41, v8, -v40
	v_dual_fmac_f32 v51, v34, v11 :: v_dual_fmac_f32 v54, v49, v17
	v_fma_f32 v16, v49, v16, -v32
	v_fma_f32 v9, v34, v10, -v30
	s_wait_dscnt 0x0
	v_dual_fmac_f32 v60, v56, v15 :: v_dual_fmac_f32 v65, v58, v1
	v_fmac_f32_e32 v64, v55, v13
	s_delay_alu instid0(VALU_DEP_3)
	v_dual_fmac_f32 v66, v59, v3 :: v_dual_add_f32 v11, v9, v16
	v_fma_f32 v10, v56, v14, -v29
	v_fma_f32 v4, v35, v4, -v31
	;; [unrolled: 1-line block ×6, first 2 shown]
	v_dual_sub_f32 v2, v39, v48 :: v_dual_add_f32 v13, v4, v10
	v_add_f32_e32 v3, v8, v18
	v_dual_sub_f32 v7, v51, v54 :: v_dual_sub_f32 v12, v57, v60
	v_dual_sub_f32 v14, v63, v64 :: v_dual_add_f32 v15, v6, v5
	v_sub_f32_e32 v17, v65, v66
	v_dual_sub_f32 v25, v8, v18 :: v_dual_add_f32 v30, v57, v60
	v_add_f32_e32 v8, v8, v24
	v_dual_add_f32 v19, v0, v1 :: v_dual_add_f32 v26, v22, v39
	v_dual_add_f32 v23, v39, v48 :: v_dual_add_f32 v34, v65, v66
	v_dual_sub_f32 v29, v4, v10 :: v_dual_add_f32 v32, v63, v64
	v_dual_sub_f32 v31, v6, v5 :: v_dual_mul_f32 v40, 0xbf7d64f0, v12
	v_dual_sub_f32 v33, v0, v1 :: v_dual_mul_f32 v56, 0xbf4178ce, v7
	v_dual_mul_f32 v35, 0xbf0a6770, v2 :: v_dual_mul_f32 v50, 0xbf0a6770, v25
	v_dual_mul_f32 v39, 0xbf68dda4, v7 :: v_dual_mul_f32 v68, 0xbf68dda4, v25
	v_dual_mul_f32 v41, 0xbf4178ce, v14 :: v_dual_add_f32 v8, v8, v9
	v_mul_f32_e32 v55, 0xbf68dda4, v2
	v_mul_f32_e32 v58, 0x3e903f40, v12
	v_dual_mul_f32 v69, 0xbf7d64f0, v2 :: v_dual_mul_f32 v74, 0xbf7d64f0, v25
	v_dual_mul_f32 v75, 0xbe903f40, v2 :: v_dual_mul_f32 v80, 0xbe903f40, v25
	v_dual_mul_f32 v81, 0xbf27a4f4, v3 :: v_dual_fmamk_f32 v106, v11, 0xbf27a4f4, v56
	v_dual_sub_f32 v27, v9, v16 :: v_dual_add_f32 v28, v51, v54
	v_dual_mul_f32 v67, 0x3f0a6770, v17 :: v_dual_mul_f32 v76, 0x3f0a6770, v7
	v_dual_mul_f32 v70, 0x3e903f40, v7 :: v_dual_mul_f32 v91, 0x3e903f40, v29
	v_dual_mul_f32 v71, 0x3f68dda4, v12 :: v_dual_mul_f32 v78, 0x3f68dda4, v14
	v_mul_f32_e32 v72, 0xbf0a6770, v14
	v_dual_mul_f32 v77, 0xbf4178ce, v12 :: v_dual_mul_f32 v88, 0xbf4178ce, v29
	v_dual_mul_f32 v82, 0xbe11bafb, v11 :: v_dual_fmamk_f32 v111, v3, 0xbe11bafb, v69
	v_mul_f32_e32 v59, 0x3f7d64f0, v14
	v_dual_mul_f32 v83, 0x3f575c64, v13 :: v_dual_fmamk_f32 v100, v3, 0x3f575c64, v35
	v_add_f32_e32 v9, v26, v51
	v_dual_mul_f32 v84, 0xbf75a155, v15 :: v_dual_fmamk_f32 v107, v13, 0xbf75a155, v58
	v_mul_f32_e32 v49, 0xbe903f40, v17
	v_dual_mul_f32 v90, 0x3f68dda4, v29 :: v_dual_mul_f32 v95, 0x3f68dda4, v31
	v_fmamk_f32 v101, v11, 0x3ed4b147, v39
	v_fma_f32 v110, 0x3ed4b147, v23, -v68
	v_fmac_f32_e32 v68, 0x3ed4b147, v23
	v_mul_f32_e32 v25, 0xbf4178ce, v25
	v_fmamk_f32 v114, v3, 0xbf75a155, v75
	v_fma_f32 v75, 0xbf75a155, v3, -v75
	v_fma_f32 v69, 0xbe11bafb, v3, -v69
	v_dual_add_f32 v4, v8, v4 :: v_dual_fmamk_f32 v105, v3, 0x3ed4b147, v55
	v_fma_f32 v55, 0x3ed4b147, v3, -v55
	v_fma_f32 v3, 0x3f575c64, v3, -v35
	s_delay_alu instid0(VALU_DEP_3)
	v_dual_fmamk_f32 v35, v2, 0x3f4178ce, v81 :: v_dual_add_f32 v4, v4, v6
	v_dual_fmac_f32 v81, 0xbf4178ce, v2 :: v_dual_add_f32 v68, v22, v68
	v_fma_f32 v2, 0xbe11bafb, v23, -v74
	v_mul_f32_e32 v89, 0xbf7d64f0, v29
	v_dual_mul_f32 v73, 0xbf4178ce, v17 :: v_dual_mul_f32 v92, 0xbf4178ce, v31
	v_mul_f32_e32 v79, 0xbf7d64f0, v17
	v_mul_f32_e32 v85, 0x3ed4b147, v19
	v_dual_mul_f32 v26, 0x3f0a6770, v27 :: v_dual_mul_f32 v97, 0x3f0a6770, v33
	v_dual_mul_f32 v51, 0xbf68dda4, v27 :: v_dual_add_f32 v8, v9, v57
	v_dual_mul_f32 v87, 0xbf4178ce, v27 :: v_dual_mul_f32 v98, 0xbf4178ce, v33
	v_mul_f32_e32 v29, 0xbf0a6770, v29
	v_mul_f32_e32 v93, 0x3f7d64f0, v31
	;; [unrolled: 1-line block ×3, first 2 shown]
	v_dual_mul_f32 v31, 0xbe903f40, v31 :: v_dual_mul_f32 v96, 0xbe903f40, v33
	v_fmamk_f32 v103, v15, 0xbf27a4f4, v41
	v_fma_f32 v104, 0x3f575c64, v23, -v50
	v_fmamk_f32 v108, v15, 0xbe11bafb, v59
	v_dual_fmamk_f32 v109, v19, 0x3f575c64, v67 :: v_dual_fmac_f32 v50, 0x3f575c64, v23
	v_fmamk_f32 v112, v11, 0xbf75a155, v70
	v_fma_f32 v115, 0xbf75a155, v23, -v80
	v_mul_f32_e32 v99, 0xbf7d64f0, v33
	v_fmac_f32_e32 v80, 0xbf75a155, v23
	v_dual_fmamk_f32 v116, v23, 0xbf27a4f4, v25 :: v_dual_add_f32 v35, v24, v35
	v_fmamk_f32 v113, v13, 0x3ed4b147, v71
	v_dual_fmamk_f32 v118, v11, 0x3f575c64, v76 :: v_dual_fmamk_f32 v125, v30, 0x3f575c64, v29
	v_fma_f32 v76, 0x3f575c64, v11, -v76
	v_fma_f32 v70, 0xbf75a155, v11, -v70
	;; [unrolled: 1-line block ×4, first 2 shown]
	v_fmamk_f32 v39, v13, 0xbf27a4f4, v77
	v_fma_f32 v77, 0xbf27a4f4, v13, -v77
	v_fma_f32 v71, 0x3ed4b147, v13, -v71
	;; [unrolled: 1-line block ×4, first 2 shown]
	v_add_f32_e32 v75, v24, v75
	v_mul_f32_e32 v86, 0x3e903f40, v27
	v_mul_f32_e32 v27, 0x3f7d64f0, v27
	v_fmamk_f32 v102, v13, 0xbe11bafb, v40
	v_fma_f32 v13, 0xbe11bafb, v13, -v40
	v_fmamk_f32 v40, v15, 0x3ed4b147, v78
	v_fma_f32 v78, 0x3ed4b147, v15, -v78
	v_dual_fmamk_f32 v123, v28, 0xbe11bafb, v27 :: v_dual_add_f32 v2, v22, v2
	v_fmac_f32_e32 v74, 0xbe11bafb, v23
	v_fma_f32 v23, 0xbf27a4f4, v23, -v25
	v_fma_f32 v124, 0xbe11bafb, v30, -v89
	v_fmac_f32_e32 v89, 0xbe11bafb, v30
	s_delay_alu instid0(VALU_DEP_4)
	v_dual_fmamk_f32 v25, v15, 0x3f575c64, v72 :: v_dual_add_f32 v74, v22, v74
	v_fma_f32 v72, 0x3f575c64, v15, -v72
	v_fma_f32 v15, 0xbf27a4f4, v15, -v41
	v_dual_fmamk_f32 v41, v7, 0xbf7d64f0, v82 :: v_dual_add_f32 v50, v22, v50
	v_fmac_f32_e32 v82, 0x3f7d64f0, v7
	v_fmamk_f32 v7, v12, 0x3f0a6770, v83
	v_fmac_f32_e32 v83, 0xbf0a6770, v12
	v_dual_fmamk_f32 v12, v14, 0x3e903f40, v84 :: v_dual_add_f32 v69, v24, v69
	v_fmac_f32_e32 v84, 0xbe903f40, v14
	v_fmamk_f32 v119, v19, 0xbf75a155, v49
	v_dual_mul_f32 v33, 0x3f68dda4, v33 :: v_dual_add_f32 v80, v22, v80
	v_fmamk_f32 v117, v19, 0xbf27a4f4, v73
	v_dual_fmamk_f32 v14, v19, 0xbe11bafb, v79 :: v_dual_add_f32 v55, v24, v55
	v_fma_f32 v79, 0xbe11bafb, v19, -v79
	v_fma_f32 v73, 0xbf27a4f4, v19, -v73
	;; [unrolled: 1-line block ×4, first 2 shown]
	v_dual_fmamk_f32 v49, v17, 0xbf68dda4, v85 :: v_dual_add_f32 v6, v8, v63
	v_fmac_f32_e32 v85, 0x3f68dda4, v17
	v_fma_f32 v17, 0x3f575c64, v28, -v26
	v_fmac_f32_e32 v26, 0x3f575c64, v28
	v_fma_f32 v120, 0xbf75a155, v28, -v86
	v_dual_fmac_f32 v86, 0xbf75a155, v28 :: v_dual_fmamk_f32 v129, v32, 0xbf75a155, v31
	v_fma_f32 v121, 0xbf27a4f4, v28, -v87
	v_fmac_f32_e32 v87, 0xbf27a4f4, v28
	v_fma_f32 v122, 0x3ed4b147, v28, -v51
	v_fmac_f32_e32 v51, 0x3ed4b147, v28
	v_fma_f32 v27, 0xbe11bafb, v28, -v27
	v_fma_f32 v9, 0xbf27a4f4, v30, -v88
	v_fmac_f32_e32 v88, 0xbf27a4f4, v30
	v_fma_f32 v28, 0x3ed4b147, v30, -v90
	v_fmac_f32_e32 v90, 0x3ed4b147, v30
	;; [unrolled: 2-line block ×3, first 2 shown]
	v_fma_f32 v29, 0x3f575c64, v30, -v29
	v_fma_f32 v30, 0x3ed4b147, v32, -v95
	v_fma_f32 v126, 0x3f575c64, v32, -v94
	v_dual_fmac_f32 v94, 0x3f575c64, v32 :: v_dual_add_f32 v3, v24, v3
	v_fma_f32 v127, 0xbe11bafb, v32, -v93
	v_fmac_f32_e32 v93, 0xbe11bafb, v32
	v_fma_f32 v128, 0xbf27a4f4, v32, -v92
	v_fmac_f32_e32 v92, 0xbf27a4f4, v32
	v_fma_f32 v31, 0xbf75a155, v32, -v31
	v_fma_f32 v130, 0xbf27a4f4, v34, -v98
	v_fmac_f32_e32 v98, 0xbf27a4f4, v34
	v_fma_f32 v131, 0x3f575c64, v34, -v97
	v_fmac_f32_e32 v97, 0x3f575c64, v34
	v_dual_fmac_f32 v95, 0x3ed4b147, v32 :: v_dual_add_f32 v26, v80, v26
	v_fma_f32 v32, 0xbe11bafb, v34, -v99
	v_dual_fmac_f32 v99, 0xbe11bafb, v34 :: v_dual_add_f32 v2, v2, v120
	v_fma_f32 v132, 0xbf75a155, v34, -v96
	v_fmac_f32_e32 v96, 0xbf75a155, v34
	v_fmamk_f32 v133, v34, 0x3ed4b147, v33
	v_fma_f32 v33, 0x3ed4b147, v34, -v33
	v_add_f32_e32 v34, v24, v100
	v_add_f32_e32 v100, v24, v105
	;; [unrolled: 1-line block ×4, first 2 shown]
	v_dual_add_f32 v24, v24, v81 :: v_dual_add_f32 v81, v22, v104
	v_add_f32_e32 v104, v22, v110
	v_add_f32_e32 v110, v22, v115
	;; [unrolled: 1-line block ×4, first 2 shown]
	v_dual_add_f32 v8, v34, v101 :: v_dual_add_f32 v23, v81, v122
	v_add_f32_e32 v0, v4, v0
	v_dual_add_f32 v34, v100, v106 :: v_dual_add_f32 v81, v105, v112
	v_add_f32_e32 v4, v6, v65
	v_add_f32_e32 v100, v111, v118
	;; [unrolled: 1-line block ×3, first 2 shown]
	v_dual_add_f32 v63, v104, v121 :: v_dual_add_f32 v22, v22, v27
	v_dual_add_f32 v17, v110, v17 :: v_dual_add_f32 v6, v24, v82
	;; [unrolled: 1-line block ×3, first 2 shown]
	v_add_f32_e32 v41, v114, v123
	v_dual_add_f32 v69, v69, v70 :: v_dual_add_f32 v2, v2, v28
	v_dual_add_f32 v70, v74, v86 :: v_dual_add_f32 v55, v55, v56
	v_add_f32_e32 v28, v100, v39
	v_dual_add_f32 v3, v3, v11 :: v_dual_add_f32 v26, v26, v88
	s_delay_alu instid0(VALU_DEP_3)
	v_dual_add_f32 v11, v50, v51 :: v_dual_add_f32 v50, v55, v58
	v_add_f32_e32 v24, v34, v107
	v_dual_add_f32 v34, v81, v113 :: v_dual_add_f32 v7, v35, v7
	v_dual_add_f32 v23, v23, v124 :: v_dual_add_f32 v0, v0, v1
	v_add_f32_e32 v27, v63, v57
	v_dual_add_f32 v9, v17, v9 :: v_dual_add_f32 v8, v8, v103
	v_add_f32_e32 v17, v75, v77
	;; [unrolled: 2-line block ×3, first 2 shown]
	v_add_f32_e32 v11, v11, v89
	v_dual_add_f32 v1, v4, v66 :: v_dual_add_f32 v4, v6, v83
	v_add_f32_e32 v6, v22, v29
	v_dual_add_f32 v41, v70, v90 :: v_dual_add_f32 v12, v7, v12
	v_dual_add_f32 v3, v3, v13 :: v_dual_add_f32 v22, v24, v108
	v_add_f32_e32 v24, v34, v25
	v_add_f32_e32 v25, v2, v126
	;; [unrolled: 1-line block ×4, first 2 shown]
	v_dual_add_f32 v29, v39, v72 :: v_dual_add_f32 v30, v41, v94
	v_add_f32_e32 v34, v50, v59
	v_add_f32_e32 v39, v3, v15
	v_dual_add_f32 v41, v4, v84 :: v_dual_add_f32 v4, v25, v130
	v_add_f32_e32 v23, v27, v127
	v_add_f32_e32 v27, v28, v40
	v_dual_add_f32 v40, v11, v92 :: v_dual_add_f32 v15, v64, v1
	v_dual_add_f32 v56, v68, v87 :: v_dual_add_f32 v3, v22, v109
	;; [unrolled: 1-line block ×3, first 2 shown]
	s_delay_alu instid0(VALU_DEP_3) | instskip(SKIP_1) | instid1(VALU_DEP_4)
	v_add_f32_e32 v15, v60, v15
	v_add_f32_e32 v11, v5, v0
	;; [unrolled: 1-line block ×4, first 2 shown]
	v_mad_co_u64_u32 v[24:25], null, s9, v61, v[42:43]
	v_add_f32_e32 v22, v54, v15
	v_add_f32_e32 v31, v6, v31
	;; [unrolled: 1-line block ×3, first 2 shown]
	v_dual_add_f32 v8, v26, v99 :: v_dual_add_f32 v7, v27, v14
	v_dual_add_f32 v14, v10, v11 :: v_dual_add_f32 v35, v51, v93
	v_add_f32_e32 v6, v9, v32
	v_dual_add_f32 v10, v28, v133 :: v_dual_add_f32 v9, v17, v79
	s_delay_alu instid0(VALU_DEP_3) | instskip(SKIP_2) | instid1(VALU_DEP_3)
	v_add_f32_e32 v16, v16, v14
	v_mad_co_u64_u32 v[25:26], null, s8, v62, 0
	v_dual_add_f32 v11, v12, v49 :: v_dual_add_f32 v12, v30, v98
	v_dual_add_f32 v17, v18, v16 :: v_dual_add_f32 v16, v48, v22
	;; [unrolled: 1-line block ×3, first 2 shown]
	v_dual_mov_b32 v48, v53 :: v_dual_add_f32 v15, v34, v67
	global_store_b64 v[36:37], v[16:17], off
	v_lshlrev_b64_e32 v[16:17], 3, v[45:46]
	v_dual_add_f32 v14, v35, v97 :: v_dual_mov_b32 v53, v24
	global_store_b64 v[43:44], v[18:19], off
	v_mov_b32_e32 v18, v26
	v_lshlrev_b64_e32 v[26:27], 3, v[47:48]
	v_add_co_u32 v16, vcc_lo, v20, v16
	s_wait_alu 0xfffd
	v_add_co_ci_u32_e32 v17, vcc_lo, v21, v17, vcc_lo
	v_add_f32_e32 v0, v13, v132
	v_add_nc_u32_e32 v24, 0x150, v38
	v_add_nc_u32_e32 v30, 0x1e0, v38
	global_store_b64 v[16:17], v[14:15], off
	v_lshlrev_b64_e32 v[14:15], 3, v[52:53]
	v_mad_co_u64_u32 v[16:17], null, s9, v62, v[18:19]
	v_add_co_u32 v17, vcc_lo, v20, v26
	v_add_nc_u32_e32 v19, 0x120, v38
	s_wait_alu 0xfffd
	v_add_co_ci_u32_e32 v18, vcc_lo, v21, v27, vcc_lo
	v_add_co_u32 v14, vcc_lo, v20, v14
	s_wait_alu 0xfffd
	v_add_co_ci_u32_e32 v15, vcc_lo, v21, v15, vcc_lo
	v_mov_b32_e32 v26, v16
	v_mad_co_u64_u32 v[27:28], null, s8, v19, 0
	v_add_f32_e32 v13, v29, v73
	v_dual_add_f32 v2, v23, v131 :: v_dual_add_nc_u32 v29, 0x1b0, v38
	v_add_f32_e32 v22, v31, v33
	s_clause 0x1
	global_store_b64 v[17:18], v[12:13], off
	global_store_b64 v[14:15], v[10:11], off
	v_mov_b32_e32 v14, v28
	v_lshlrev_b64_e32 v[10:11], 3, v[25:26]
	v_or_b32_e32 v25, 0x180, v38
	v_mad_co_u64_u32 v[12:13], null, s8, v24, 0
	s_delay_alu instid0(VALU_DEP_2) | instskip(NEXT) | instid1(VALU_DEP_4)
	v_mad_co_u64_u32 v[15:16], null, s8, v25, 0
	v_add_co_u32 v10, vcc_lo, v20, v10
	s_wait_alu 0xfffd
	v_add_co_ci_u32_e32 v11, vcc_lo, v21, v11, vcc_lo
	s_delay_alu instid0(VALU_DEP_3)
	v_mad_co_u64_u32 v[17:18], null, s9, v19, v[14:15]
	v_mad_co_u64_u32 v[13:14], null, s9, v24, v[13:14]
	v_mov_b32_e32 v14, v16
	v_mad_co_u64_u32 v[18:19], null, s8, v29, 0
	global_store_b64 v[10:11], v[8:9], off
	v_mov_b32_e32 v28, v17
	v_mad_co_u64_u32 v[24:25], null, s9, v25, v[14:15]
	v_mad_co_u64_u32 v[25:26], null, s8, v30, 0
	s_delay_alu instid0(VALU_DEP_3) | instskip(SKIP_3) | instid1(VALU_DEP_3)
	v_lshlrev_b64_e32 v[9:10], 3, v[27:28]
	v_dual_mov_b32 v8, v19 :: v_dual_add_f32 v23, v41, v85
	v_lshlrev_b64_e32 v[11:12], 3, v[12:13]
	v_mov_b32_e32 v16, v24
	v_mad_co_u64_u32 v[27:28], null, s9, v29, v[8:9]
	v_mov_b32_e32 v8, v26
	v_add_co_u32 v9, vcc_lo, v20, v9
	s_wait_alu 0xfffd
	v_add_co_ci_u32_e32 v10, vcc_lo, v21, v10, vcc_lo
	v_add_co_u32 v11, vcc_lo, v20, v11
	s_delay_alu instid0(VALU_DEP_3) | instskip(SKIP_4) | instid1(VALU_DEP_3)
	v_mad_co_u64_u32 v[13:14], null, s9, v30, v[8:9]
	v_mov_b32_e32 v19, v27
	v_lshlrev_b64_e32 v[14:15], 3, v[15:16]
	s_wait_alu 0xfffd
	v_add_co_ci_u32_e32 v12, vcc_lo, v21, v12, vcc_lo
	v_lshlrev_b64_e32 v[16:17], 3, v[18:19]
	v_mov_b32_e32 v26, v13
	s_delay_alu instid0(VALU_DEP_4) | instskip(SKIP_2) | instid1(VALU_DEP_3)
	v_add_co_u32 v13, vcc_lo, v20, v14
	s_wait_alu 0xfffd
	v_add_co_ci_u32_e32 v14, vcc_lo, v21, v15, vcc_lo
	v_lshlrev_b64_e32 v[18:19], 3, v[25:26]
	v_add_co_u32 v15, vcc_lo, v20, v16
	s_wait_alu 0xfffd
	v_add_co_ci_u32_e32 v16, vcc_lo, v21, v17, vcc_lo
	s_delay_alu instid0(VALU_DEP_3)
	v_add_co_u32 v17, vcc_lo, v20, v18
	s_wait_alu 0xfffd
	v_add_co_ci_u32_e32 v18, vcc_lo, v21, v19, vcc_lo
	s_clause 0x4
	global_store_b64 v[9:10], v[6:7], off
	global_store_b64 v[11:12], v[22:23], off
	global_store_b64 v[13:14], v[4:5], off
	global_store_b64 v[15:16], v[2:3], off
	global_store_b64 v[17:18], v[0:1], off
.LBB0_37:
	s_nop 0
	s_sendmsg sendmsg(MSG_DEALLOC_VGPRS)
	s_endpgm
	.section	.rodata,"a",@progbits
	.p2align	6, 0x0
	.amdhsa_kernel fft_rtc_back_len528_factors_4_4_3_11_wgs_48_tpt_48_halfLds_sp_ip_CI_sbrr_dirReg
		.amdhsa_group_segment_fixed_size 0
		.amdhsa_private_segment_fixed_size 0
		.amdhsa_kernarg_size 88
		.amdhsa_user_sgpr_count 2
		.amdhsa_user_sgpr_dispatch_ptr 0
		.amdhsa_user_sgpr_queue_ptr 0
		.amdhsa_user_sgpr_kernarg_segment_ptr 1
		.amdhsa_user_sgpr_dispatch_id 0
		.amdhsa_user_sgpr_private_segment_size 0
		.amdhsa_wavefront_size32 1
		.amdhsa_uses_dynamic_stack 0
		.amdhsa_enable_private_segment 0
		.amdhsa_system_sgpr_workgroup_id_x 1
		.amdhsa_system_sgpr_workgroup_id_y 0
		.amdhsa_system_sgpr_workgroup_id_z 0
		.amdhsa_system_sgpr_workgroup_info 0
		.amdhsa_system_vgpr_workitem_id 0
		.amdhsa_next_free_vgpr 134
		.amdhsa_next_free_sgpr 35
		.amdhsa_reserve_vcc 1
		.amdhsa_float_round_mode_32 0
		.amdhsa_float_round_mode_16_64 0
		.amdhsa_float_denorm_mode_32 3
		.amdhsa_float_denorm_mode_16_64 3
		.amdhsa_fp16_overflow 0
		.amdhsa_workgroup_processor_mode 1
		.amdhsa_memory_ordered 1
		.amdhsa_forward_progress 0
		.amdhsa_round_robin_scheduling 0
		.amdhsa_exception_fp_ieee_invalid_op 0
		.amdhsa_exception_fp_denorm_src 0
		.amdhsa_exception_fp_ieee_div_zero 0
		.amdhsa_exception_fp_ieee_overflow 0
		.amdhsa_exception_fp_ieee_underflow 0
		.amdhsa_exception_fp_ieee_inexact 0
		.amdhsa_exception_int_div_zero 0
	.end_amdhsa_kernel
	.text
.Lfunc_end0:
	.size	fft_rtc_back_len528_factors_4_4_3_11_wgs_48_tpt_48_halfLds_sp_ip_CI_sbrr_dirReg, .Lfunc_end0-fft_rtc_back_len528_factors_4_4_3_11_wgs_48_tpt_48_halfLds_sp_ip_CI_sbrr_dirReg
                                        ; -- End function
	.section	.AMDGPU.csdata,"",@progbits
; Kernel info:
; codeLenInByte = 8156
; NumSgprs: 37
; NumVgprs: 134
; ScratchSize: 0
; MemoryBound: 0
; FloatMode: 240
; IeeeMode: 1
; LDSByteSize: 0 bytes/workgroup (compile time only)
; SGPRBlocks: 4
; VGPRBlocks: 16
; NumSGPRsForWavesPerEU: 37
; NumVGPRsForWavesPerEU: 134
; Occupancy: 10
; WaveLimiterHint : 1
; COMPUTE_PGM_RSRC2:SCRATCH_EN: 0
; COMPUTE_PGM_RSRC2:USER_SGPR: 2
; COMPUTE_PGM_RSRC2:TRAP_HANDLER: 0
; COMPUTE_PGM_RSRC2:TGID_X_EN: 1
; COMPUTE_PGM_RSRC2:TGID_Y_EN: 0
; COMPUTE_PGM_RSRC2:TGID_Z_EN: 0
; COMPUTE_PGM_RSRC2:TIDIG_COMP_CNT: 0
	.text
	.p2alignl 7, 3214868480
	.fill 96, 4, 3214868480
	.type	__hip_cuid_547f8144c0e115f5,@object ; @__hip_cuid_547f8144c0e115f5
	.section	.bss,"aw",@nobits
	.globl	__hip_cuid_547f8144c0e115f5
__hip_cuid_547f8144c0e115f5:
	.byte	0                               ; 0x0
	.size	__hip_cuid_547f8144c0e115f5, 1

	.ident	"AMD clang version 19.0.0git (https://github.com/RadeonOpenCompute/llvm-project roc-6.4.0 25133 c7fe45cf4b819c5991fe208aaa96edf142730f1d)"
	.section	".note.GNU-stack","",@progbits
	.addrsig
	.addrsig_sym __hip_cuid_547f8144c0e115f5
	.amdgpu_metadata
---
amdhsa.kernels:
  - .args:
      - .actual_access:  read_only
        .address_space:  global
        .offset:         0
        .size:           8
        .value_kind:     global_buffer
      - .offset:         8
        .size:           8
        .value_kind:     by_value
      - .actual_access:  read_only
        .address_space:  global
        .offset:         16
        .size:           8
        .value_kind:     global_buffer
      - .actual_access:  read_only
        .address_space:  global
        .offset:         24
        .size:           8
        .value_kind:     global_buffer
      - .offset:         32
        .size:           8
        .value_kind:     by_value
      - .actual_access:  read_only
        .address_space:  global
        .offset:         40
        .size:           8
        .value_kind:     global_buffer
      - .actual_access:  read_only
        .address_space:  global
        .offset:         48
        .size:           8
        .value_kind:     global_buffer
      - .offset:         56
        .size:           4
        .value_kind:     by_value
      - .actual_access:  read_only
        .address_space:  global
        .offset:         64
        .size:           8
        .value_kind:     global_buffer
      - .actual_access:  read_only
        .address_space:  global
        .offset:         72
        .size:           8
        .value_kind:     global_buffer
      - .address_space:  global
        .offset:         80
        .size:           8
        .value_kind:     global_buffer
    .group_segment_fixed_size: 0
    .kernarg_segment_align: 8
    .kernarg_segment_size: 88
    .language:       OpenCL C
    .language_version:
      - 2
      - 0
    .max_flat_workgroup_size: 48
    .name:           fft_rtc_back_len528_factors_4_4_3_11_wgs_48_tpt_48_halfLds_sp_ip_CI_sbrr_dirReg
    .private_segment_fixed_size: 0
    .sgpr_count:     37
    .sgpr_spill_count: 0
    .symbol:         fft_rtc_back_len528_factors_4_4_3_11_wgs_48_tpt_48_halfLds_sp_ip_CI_sbrr_dirReg.kd
    .uniform_work_group_size: 1
    .uses_dynamic_stack: false
    .vgpr_count:     134
    .vgpr_spill_count: 0
    .wavefront_size: 32
    .workgroup_processor_mode: 1
amdhsa.target:   amdgcn-amd-amdhsa--gfx1201
amdhsa.version:
  - 1
  - 2
...

	.end_amdgpu_metadata
